;; amdgpu-corpus repo=ROCm/rocFFT kind=compiled arch=gfx1201 opt=O3
	.text
	.amdgcn_target "amdgcn-amd-amdhsa--gfx1201"
	.amdhsa_code_object_version 6
	.protected	fft_rtc_back_len2400_factors_4_10_10_6_wgs_240_tpt_240_halfLds_sp_ip_CI_unitstride_sbrr_R2C_dirReg ; -- Begin function fft_rtc_back_len2400_factors_4_10_10_6_wgs_240_tpt_240_halfLds_sp_ip_CI_unitstride_sbrr_R2C_dirReg
	.globl	fft_rtc_back_len2400_factors_4_10_10_6_wgs_240_tpt_240_halfLds_sp_ip_CI_unitstride_sbrr_R2C_dirReg
	.p2align	8
	.type	fft_rtc_back_len2400_factors_4_10_10_6_wgs_240_tpt_240_halfLds_sp_ip_CI_unitstride_sbrr_R2C_dirReg,@function
fft_rtc_back_len2400_factors_4_10_10_6_wgs_240_tpt_240_halfLds_sp_ip_CI_unitstride_sbrr_R2C_dirReg: ; @fft_rtc_back_len2400_factors_4_10_10_6_wgs_240_tpt_240_halfLds_sp_ip_CI_unitstride_sbrr_R2C_dirReg
; %bb.0:
	s_clause 0x2
	s_load_b128 s[4:7], s[0:1], 0x0
	s_load_b64 s[8:9], s[0:1], 0x50
	s_load_b64 s[10:11], s[0:1], 0x18
	v_mul_u32_u24_e32 v1, 0x112, v0
	v_mov_b32_e32 v3, 0
	s_delay_alu instid0(VALU_DEP_2) | instskip(NEXT) | instid1(VALU_DEP_1)
	v_lshrrev_b32_e32 v1, 16, v1
	v_add_nc_u32_e32 v5, ttmp9, v1
	v_mov_b32_e32 v1, 0
	v_mov_b32_e32 v2, 0
	;; [unrolled: 1-line block ×3, first 2 shown]
	s_wait_kmcnt 0x0
	v_cmp_lt_u64_e64 s2, s[6:7], 2
	s_delay_alu instid0(VALU_DEP_1)
	s_and_b32 vcc_lo, exec_lo, s2
	s_cbranch_vccnz .LBB0_8
; %bb.1:
	s_load_b64 s[2:3], s[0:1], 0x10
	v_mov_b32_e32 v1, 0
	v_mov_b32_e32 v2, 0
	s_add_nc_u64 s[12:13], s[10:11], 8
	s_mov_b64 s[14:15], 1
	s_wait_kmcnt 0x0
	s_add_nc_u64 s[16:17], s[2:3], 8
	s_mov_b32 s3, 0
.LBB0_2:                                ; =>This Inner Loop Header: Depth=1
	s_load_b64 s[18:19], s[16:17], 0x0
                                        ; implicit-def: $vgpr7_vgpr8
	s_mov_b32 s2, exec_lo
	s_wait_kmcnt 0x0
	v_or_b32_e32 v4, s19, v6
	s_delay_alu instid0(VALU_DEP_1)
	v_cmpx_ne_u64_e32 0, v[3:4]
	s_wait_alu 0xfffe
	s_xor_b32 s20, exec_lo, s2
	s_cbranch_execz .LBB0_4
; %bb.3:                                ;   in Loop: Header=BB0_2 Depth=1
	s_cvt_f32_u32 s2, s18
	s_cvt_f32_u32 s21, s19
	s_sub_nc_u64 s[24:25], 0, s[18:19]
	s_wait_alu 0xfffe
	s_delay_alu instid0(SALU_CYCLE_1) | instskip(SKIP_1) | instid1(SALU_CYCLE_2)
	s_fmamk_f32 s2, s21, 0x4f800000, s2
	s_wait_alu 0xfffe
	v_s_rcp_f32 s2, s2
	s_delay_alu instid0(TRANS32_DEP_1) | instskip(SKIP_1) | instid1(SALU_CYCLE_2)
	s_mul_f32 s2, s2, 0x5f7ffffc
	s_wait_alu 0xfffe
	s_mul_f32 s21, s2, 0x2f800000
	s_wait_alu 0xfffe
	s_delay_alu instid0(SALU_CYCLE_2) | instskip(SKIP_1) | instid1(SALU_CYCLE_2)
	s_trunc_f32 s21, s21
	s_wait_alu 0xfffe
	s_fmamk_f32 s2, s21, 0xcf800000, s2
	s_cvt_u32_f32 s23, s21
	s_wait_alu 0xfffe
	s_delay_alu instid0(SALU_CYCLE_1) | instskip(SKIP_1) | instid1(SALU_CYCLE_2)
	s_cvt_u32_f32 s22, s2
	s_wait_alu 0xfffe
	s_mul_u64 s[26:27], s[24:25], s[22:23]
	s_wait_alu 0xfffe
	s_mul_hi_u32 s29, s22, s27
	s_mul_i32 s28, s22, s27
	s_mul_hi_u32 s2, s22, s26
	s_mul_i32 s30, s23, s26
	s_wait_alu 0xfffe
	s_add_nc_u64 s[28:29], s[2:3], s[28:29]
	s_mul_hi_u32 s21, s23, s26
	s_mul_hi_u32 s31, s23, s27
	s_add_co_u32 s2, s28, s30
	s_wait_alu 0xfffe
	s_add_co_ci_u32 s2, s29, s21
	s_mul_i32 s26, s23, s27
	s_add_co_ci_u32 s27, s31, 0
	s_wait_alu 0xfffe
	s_add_nc_u64 s[26:27], s[2:3], s[26:27]
	s_wait_alu 0xfffe
	v_add_co_u32 v4, s2, s22, s26
	s_delay_alu instid0(VALU_DEP_1) | instskip(SKIP_1) | instid1(VALU_DEP_1)
	s_cmp_lg_u32 s2, 0
	s_add_co_ci_u32 s23, s23, s27
	v_readfirstlane_b32 s22, v4
	s_wait_alu 0xfffe
	s_delay_alu instid0(VALU_DEP_1)
	s_mul_u64 s[24:25], s[24:25], s[22:23]
	s_wait_alu 0xfffe
	s_mul_hi_u32 s27, s22, s25
	s_mul_i32 s26, s22, s25
	s_mul_hi_u32 s2, s22, s24
	s_mul_i32 s28, s23, s24
	s_wait_alu 0xfffe
	s_add_nc_u64 s[26:27], s[2:3], s[26:27]
	s_mul_hi_u32 s21, s23, s24
	s_mul_hi_u32 s22, s23, s25
	s_wait_alu 0xfffe
	s_add_co_u32 s2, s26, s28
	s_add_co_ci_u32 s2, s27, s21
	s_mul_i32 s24, s23, s25
	s_add_co_ci_u32 s25, s22, 0
	s_wait_alu 0xfffe
	s_add_nc_u64 s[24:25], s[2:3], s[24:25]
	s_wait_alu 0xfffe
	v_add_co_u32 v4, s2, v4, s24
	s_delay_alu instid0(VALU_DEP_1) | instskip(SKIP_1) | instid1(VALU_DEP_1)
	s_cmp_lg_u32 s2, 0
	s_add_co_ci_u32 s2, s23, s25
	v_mul_hi_u32 v13, v5, v4
	s_wait_alu 0xfffe
	v_mad_co_u64_u32 v[7:8], null, v5, s2, 0
	v_mad_co_u64_u32 v[9:10], null, v6, v4, 0
	;; [unrolled: 1-line block ×3, first 2 shown]
	s_delay_alu instid0(VALU_DEP_3) | instskip(SKIP_1) | instid1(VALU_DEP_4)
	v_add_co_u32 v4, vcc_lo, v13, v7
	s_wait_alu 0xfffd
	v_add_co_ci_u32_e32 v7, vcc_lo, 0, v8, vcc_lo
	s_delay_alu instid0(VALU_DEP_2) | instskip(SKIP_1) | instid1(VALU_DEP_2)
	v_add_co_u32 v4, vcc_lo, v4, v9
	s_wait_alu 0xfffd
	v_add_co_ci_u32_e32 v4, vcc_lo, v7, v10, vcc_lo
	s_wait_alu 0xfffd
	v_add_co_ci_u32_e32 v7, vcc_lo, 0, v12, vcc_lo
	s_delay_alu instid0(VALU_DEP_2) | instskip(SKIP_1) | instid1(VALU_DEP_2)
	v_add_co_u32 v4, vcc_lo, v4, v11
	s_wait_alu 0xfffd
	v_add_co_ci_u32_e32 v9, vcc_lo, 0, v7, vcc_lo
	s_delay_alu instid0(VALU_DEP_2) | instskip(SKIP_1) | instid1(VALU_DEP_3)
	v_mul_lo_u32 v10, s19, v4
	v_mad_co_u64_u32 v[7:8], null, s18, v4, 0
	v_mul_lo_u32 v11, s18, v9
	s_delay_alu instid0(VALU_DEP_2) | instskip(NEXT) | instid1(VALU_DEP_2)
	v_sub_co_u32 v7, vcc_lo, v5, v7
	v_add3_u32 v8, v8, v11, v10
	s_delay_alu instid0(VALU_DEP_1) | instskip(SKIP_1) | instid1(VALU_DEP_1)
	v_sub_nc_u32_e32 v10, v6, v8
	s_wait_alu 0xfffd
	v_subrev_co_ci_u32_e64 v10, s2, s19, v10, vcc_lo
	v_add_co_u32 v11, s2, v4, 2
	s_wait_alu 0xf1ff
	v_add_co_ci_u32_e64 v12, s2, 0, v9, s2
	v_sub_co_u32 v13, s2, v7, s18
	v_sub_co_ci_u32_e32 v8, vcc_lo, v6, v8, vcc_lo
	s_wait_alu 0xf1ff
	v_subrev_co_ci_u32_e64 v10, s2, 0, v10, s2
	s_delay_alu instid0(VALU_DEP_3) | instskip(NEXT) | instid1(VALU_DEP_3)
	v_cmp_le_u32_e32 vcc_lo, s18, v13
	v_cmp_eq_u32_e64 s2, s19, v8
	s_wait_alu 0xfffd
	v_cndmask_b32_e64 v13, 0, -1, vcc_lo
	v_cmp_le_u32_e32 vcc_lo, s19, v10
	s_wait_alu 0xfffd
	v_cndmask_b32_e64 v14, 0, -1, vcc_lo
	v_cmp_le_u32_e32 vcc_lo, s18, v7
	;; [unrolled: 3-line block ×3, first 2 shown]
	s_wait_alu 0xfffd
	v_cndmask_b32_e64 v15, 0, -1, vcc_lo
	v_cmp_eq_u32_e32 vcc_lo, s19, v10
	s_wait_alu 0xf1ff
	s_delay_alu instid0(VALU_DEP_2)
	v_cndmask_b32_e64 v7, v15, v7, s2
	s_wait_alu 0xfffd
	v_cndmask_b32_e32 v10, v14, v13, vcc_lo
	v_add_co_u32 v13, vcc_lo, v4, 1
	s_wait_alu 0xfffd
	v_add_co_ci_u32_e32 v14, vcc_lo, 0, v9, vcc_lo
	s_delay_alu instid0(VALU_DEP_3) | instskip(SKIP_2) | instid1(VALU_DEP_3)
	v_cmp_ne_u32_e32 vcc_lo, 0, v10
	s_wait_alu 0xfffd
	v_cndmask_b32_e32 v10, v13, v11, vcc_lo
	v_cndmask_b32_e32 v8, v14, v12, vcc_lo
	v_cmp_ne_u32_e32 vcc_lo, 0, v7
	s_wait_alu 0xfffd
	s_delay_alu instid0(VALU_DEP_2)
	v_dual_cndmask_b32 v7, v4, v10 :: v_dual_cndmask_b32 v8, v9, v8
.LBB0_4:                                ;   in Loop: Header=BB0_2 Depth=1
	s_wait_alu 0xfffe
	s_and_not1_saveexec_b32 s2, s20
	s_cbranch_execz .LBB0_6
; %bb.5:                                ;   in Loop: Header=BB0_2 Depth=1
	v_cvt_f32_u32_e32 v4, s18
	s_sub_co_i32 s20, 0, s18
	s_delay_alu instid0(VALU_DEP_1) | instskip(NEXT) | instid1(TRANS32_DEP_1)
	v_rcp_iflag_f32_e32 v4, v4
	v_mul_f32_e32 v4, 0x4f7ffffe, v4
	s_delay_alu instid0(VALU_DEP_1) | instskip(SKIP_1) | instid1(VALU_DEP_1)
	v_cvt_u32_f32_e32 v4, v4
	s_wait_alu 0xfffe
	v_mul_lo_u32 v7, s20, v4
	s_delay_alu instid0(VALU_DEP_1) | instskip(NEXT) | instid1(VALU_DEP_1)
	v_mul_hi_u32 v7, v4, v7
	v_add_nc_u32_e32 v4, v4, v7
	s_delay_alu instid0(VALU_DEP_1) | instskip(NEXT) | instid1(VALU_DEP_1)
	v_mul_hi_u32 v4, v5, v4
	v_mul_lo_u32 v7, v4, s18
	v_add_nc_u32_e32 v8, 1, v4
	s_delay_alu instid0(VALU_DEP_2) | instskip(NEXT) | instid1(VALU_DEP_1)
	v_sub_nc_u32_e32 v7, v5, v7
	v_subrev_nc_u32_e32 v9, s18, v7
	v_cmp_le_u32_e32 vcc_lo, s18, v7
	s_wait_alu 0xfffd
	s_delay_alu instid0(VALU_DEP_2) | instskip(NEXT) | instid1(VALU_DEP_1)
	v_dual_cndmask_b32 v7, v7, v9 :: v_dual_cndmask_b32 v4, v4, v8
	v_cmp_le_u32_e32 vcc_lo, s18, v7
	s_delay_alu instid0(VALU_DEP_2) | instskip(SKIP_1) | instid1(VALU_DEP_1)
	v_add_nc_u32_e32 v8, 1, v4
	s_wait_alu 0xfffd
	v_dual_cndmask_b32 v7, v4, v8 :: v_dual_mov_b32 v8, v3
.LBB0_6:                                ;   in Loop: Header=BB0_2 Depth=1
	s_wait_alu 0xfffe
	s_or_b32 exec_lo, exec_lo, s2
	s_load_b64 s[20:21], s[12:13], 0x0
	s_delay_alu instid0(VALU_DEP_1)
	v_mul_lo_u32 v4, v8, s18
	v_mul_lo_u32 v11, v7, s19
	v_mad_co_u64_u32 v[9:10], null, v7, s18, 0
	s_add_nc_u64 s[14:15], s[14:15], 1
	s_add_nc_u64 s[12:13], s[12:13], 8
	s_wait_alu 0xfffe
	v_cmp_ge_u64_e64 s2, s[14:15], s[6:7]
	s_add_nc_u64 s[16:17], s[16:17], 8
	s_delay_alu instid0(VALU_DEP_2) | instskip(NEXT) | instid1(VALU_DEP_3)
	v_add3_u32 v4, v10, v11, v4
	v_sub_co_u32 v5, vcc_lo, v5, v9
	s_wait_alu 0xfffd
	s_delay_alu instid0(VALU_DEP_2) | instskip(SKIP_3) | instid1(VALU_DEP_2)
	v_sub_co_ci_u32_e32 v4, vcc_lo, v6, v4, vcc_lo
	s_and_b32 vcc_lo, exec_lo, s2
	s_wait_kmcnt 0x0
	v_mul_lo_u32 v6, s21, v5
	v_mul_lo_u32 v4, s20, v4
	v_mad_co_u64_u32 v[1:2], null, s20, v5, v[1:2]
	s_delay_alu instid0(VALU_DEP_1)
	v_add3_u32 v2, v6, v2, v4
	s_wait_alu 0xfffe
	s_cbranch_vccnz .LBB0_9
; %bb.7:                                ;   in Loop: Header=BB0_2 Depth=1
	v_dual_mov_b32 v5, v7 :: v_dual_mov_b32 v6, v8
	s_branch .LBB0_2
.LBB0_8:
	v_dual_mov_b32 v8, v6 :: v_dual_mov_b32 v7, v5
.LBB0_9:
	s_lshl_b64 s[2:3], s[6:7], 3
	v_mul_hi_u32 v3, 0x1111112, v0
	s_wait_alu 0xfffe
	s_add_nc_u64 s[2:3], s[10:11], s[2:3]
	s_load_b64 s[2:3], s[2:3], 0x0
	s_load_b64 s[0:1], s[0:1], 0x20
	s_delay_alu instid0(VALU_DEP_1) | instskip(NEXT) | instid1(VALU_DEP_1)
	v_mul_u32_u24_e32 v3, 0xf0, v3
	v_sub_nc_u32_e32 v0, v0, v3
	s_delay_alu instid0(VALU_DEP_1)
	v_add_nc_u32_e32 v5, 0xf0, v0
	s_wait_kmcnt 0x0
	v_mul_lo_u32 v4, s2, v8
	v_mul_lo_u32 v6, s3, v7
	v_mad_co_u64_u32 v[1:2], null, s2, v7, v[1:2]
	v_cmp_gt_u64_e32 vcc_lo, s[0:1], v[7:8]
	v_cmp_le_u64_e64 s0, s[0:1], v[7:8]
	s_delay_alu instid0(VALU_DEP_3) | instskip(SKIP_1) | instid1(VALU_DEP_3)
	v_add3_u32 v2, v6, v2, v4
	v_add_nc_u32_e32 v4, 0x1e0, v0
	s_and_saveexec_b32 s1, s0
	s_wait_alu 0xfffe
	s_xor_b32 s0, exec_lo, s1
; %bb.10:
	v_add_nc_u32_e32 v5, 0xf0, v0
	v_add_nc_u32_e32 v4, 0x1e0, v0
; %bb.11:
	s_wait_alu 0xfffe
	s_or_saveexec_b32 s1, s0
	v_lshlrev_b64_e32 v[2:3], 3, v[1:2]
	v_lshl_add_u32 v30, v0, 3, 0
	s_wait_alu 0xfffe
	s_xor_b32 exec_lo, exec_lo, s1
	s_cbranch_execz .LBB0_13
; %bb.12:
	s_delay_alu instid0(VALU_DEP_1) | instskip(SKIP_2) | instid1(VALU_DEP_3)
	v_dual_mov_b32 v1, 0 :: v_dual_add_nc_u32 v26, 0x1e00, v30
	v_add_nc_u32_e32 v27, 0x2d00, v30
	v_add_nc_u32_e32 v28, 0x3c00, v30
	v_lshlrev_b64_e32 v[6:7], 3, v[0:1]
	v_add_co_u32 v1, s0, s8, v2
	s_wait_alu 0xf1ff
	v_add_co_ci_u32_e64 v8, s0, s9, v3, s0
	s_delay_alu instid0(VALU_DEP_2) | instskip(SKIP_1) | instid1(VALU_DEP_2)
	v_add_co_u32 v6, s0, v1, v6
	s_wait_alu 0xf1ff
	v_add_co_ci_u32_e64 v7, s0, v8, v7, s0
	v_add_nc_u32_e32 v1, 0xf00, v30
	s_clause 0x9
	global_load_b64 v[8:9], v[6:7], off
	global_load_b64 v[10:11], v[6:7], off offset:1920
	global_load_b64 v[12:13], v[6:7], off offset:3840
	;; [unrolled: 1-line block ×9, first 2 shown]
	s_wait_loadcnt 0x8
	ds_store_2addr_b64 v30, v[8:9], v[10:11] offset1:240
	s_wait_loadcnt 0x6
	ds_store_2addr_b64 v1, v[12:13], v[14:15] offset1:240
	s_wait_loadcnt 0x4
	ds_store_2addr_b64 v26, v[16:17], v[18:19] offset1:240
	s_wait_loadcnt 0x2
	ds_store_2addr_b64 v27, v[20:21], v[22:23] offset1:240
	s_wait_loadcnt 0x0
	ds_store_2addr_b64 v28, v[24:25], v[6:7] offset1:240
.LBB0_13:
	s_or_b32 exec_lo, exec_lo, s1
	v_add_nc_u32_e32 v1, 0xc00, v30
	global_wb scope:SCOPE_SE
	s_wait_dscnt 0x0
	s_barrier_signal -1
	s_barrier_wait -1
	global_inv scope:SCOPE_SE
	ds_load_2addr_b64 v[6:9], v30 offset1:240
	v_add_nc_u32_e32 v10, 0x2580, v30
	v_add_nc_u32_e32 v11, 0x3400, v30
	ds_load_2addr_b64 v[13:16], v1 offset0:96 offset1:216
	ds_load_2addr_b64 v[17:20], v10 offset1:240
	v_add_nc_u32_e32 v1, 0x1a00, v30
	v_add_nc_u32_e32 v12, 0x3f80, v30
	ds_load_2addr_b64 v[21:24], v11 offset0:16 offset1:136
	ds_load_2addr_b64 v[25:28], v1 offset0:8 offset1:248
	;; [unrolled: 1-line block ×3, first 2 shown]
	s_mov_b32 s1, exec_lo
	global_wb scope:SCOPE_SE
	s_wait_dscnt 0x0
	s_barrier_signal -1
	s_barrier_wait -1
	global_inv scope:SCOPE_SE
	v_sub_f32_e32 v37, v9, v20
	v_dual_sub_f32 v1, v6, v17 :: v_dual_sub_f32 v12, v15, v23
	v_sub_f32_e32 v17, v16, v24
	v_sub_f32_e32 v32, v26, v32
	s_delay_alu instid0(VALU_DEP_4) | instskip(SKIP_2) | instid1(VALU_DEP_4)
	v_fma_f32 v9, v9, 2.0, -v37
	v_sub_f32_e32 v36, v25, v31
	v_fma_f32 v6, v6, 2.0, -v1
	v_fma_f32 v24, v26, 2.0, -v32
	v_sub_f32_e32 v11, v7, v18
	v_fma_f32 v18, v15, 2.0, -v12
	v_add_f32_e32 v15, v1, v17
	s_delay_alu instid0(VALU_DEP_4)
	v_dual_sub_f32 v24, v9, v24 :: v_dual_sub_f32 v29, v8, v19
	v_fma_f32 v19, v16, 2.0, -v17
	v_sub_f32_e32 v16, v11, v12
	v_fma_f32 v7, v7, 2.0, -v11
	v_fma_f32 v12, v25, 2.0, -v36
	;; [unrolled: 1-line block ×3, first 2 shown]
	v_sub_f32_e32 v17, v6, v18
	v_fma_f32 v20, v11, 2.0, -v16
	v_dual_sub_f32 v11, v13, v21 :: v_dual_sub_f32 v18, v7, v19
	v_sub_f32_e32 v36, v37, v36
	s_delay_alu instid0(VALU_DEP_4) | instskip(SKIP_1) | instid1(VALU_DEP_4)
	v_fma_f32 v25, v6, 2.0, -v17
	v_add_f32_e32 v35, v29, v32
	v_fma_f32 v13, v13, 2.0, -v11
	v_dual_sub_f32 v23, v8, v12 :: v_dual_sub_f32 v12, v14, v22
	v_fma_f32 v19, v1, 2.0, -v15
	v_sub_f32_e32 v1, v27, v33
	v_fma_f32 v26, v7, 2.0, -v18
	v_fma_f32 v32, v9, 2.0, -v24
	v_fma_f32 v14, v14, 2.0, -v12
	v_fma_f32 v22, v37, 2.0, -v36
	v_fma_f32 v6, v27, 2.0, -v1
	v_sub_f32_e32 v9, v12, v1
	v_mad_u32_u24 v27, v0, 24, v30
	v_lshl_add_u32 v1, v5, 5, 0
	s_delay_alu instid0(VALU_DEP_4)
	v_sub_f32_e32 v6, v13, v6
	v_fma_f32 v31, v8, 2.0, -v23
	v_sub_f32_e32 v8, v28, v34
	v_fma_f32 v21, v29, 2.0, -v35
	ds_store_2addr_b64 v27, v[25:26], v[19:20] offset1:1
	ds_store_2addr_b64 v27, v[17:18], v[15:16] offset0:2 offset1:3
	ds_store_2addr_b64 v1, v[31:32], v[21:22] offset1:1
	ds_store_2addr_b64 v1, v[23:24], v[35:36] offset0:2 offset1:3
	v_fma_f32 v7, v28, 2.0, -v8
	s_delay_alu instid0(VALU_DEP_1)
	v_dual_add_f32 v8, v11, v8 :: v_dual_sub_f32 v7, v14, v7
	v_cmpx_gt_u32_e32 0x78, v0
	s_cbranch_execz .LBB0_15
; %bb.14:
	v_fma_f32 v12, v12, 2.0, -v9
	s_delay_alu instid0(VALU_DEP_3)
	v_fma_f32 v11, v11, 2.0, -v8
	v_fma_f32 v14, v14, 2.0, -v7
	;; [unrolled: 1-line block ×3, first 2 shown]
	v_lshl_add_u32 v15, v4, 5, 0
	ds_store_2addr_b64 v15, v[13:14], v[11:12] offset1:1
	ds_store_2addr_b64 v15, v[6:7], v[8:9] offset0:2 offset1:3
.LBB0_15:
	s_wait_alu 0xfffe
	s_or_b32 exec_lo, exec_lo, s1
	v_and_b32_e32 v29, 3, v0
	global_wb scope:SCOPE_SE
	s_wait_dscnt 0x0
	s_barrier_signal -1
	s_barrier_wait -1
	global_inv scope:SCOPE_SE
	v_mul_u32_u24_e32 v11, 9, v29
	v_mad_i32_i24 v53, 0xffffffe8, v5, v1
	v_lshrrev_b32_e32 v40, 2, v0
	v_cmp_gt_u32_e64 s0, 0xa0, v0
	s_delay_alu instid0(VALU_DEP_4)
	v_lshlrev_b32_e32 v27, 3, v11
	s_clause 0x4
	global_load_b128 v[11:14], v27, s[4:5]
	global_load_b128 v[15:18], v27, s[4:5] offset:16
	global_load_b128 v[19:22], v27, s[4:5] offset:32
	;; [unrolled: 1-line block ×3, first 2 shown]
	global_load_b64 v[27:28], v27, s[4:5] offset:64
	v_and_b32_e32 v31, 0xff, v0
	ds_load_b64 v[44:45], v53
	v_mul_u32_u24_e32 v56, 40, v40
	v_mul_lo_u16 v31, 0xcd, v31
	s_delay_alu instid0(VALU_DEP_1) | instskip(SKIP_1) | instid1(VALU_DEP_2)
	v_lshrrev_b16 v52, 13, v31
	v_lshl_add_u32 v31, v4, 3, 0
	v_mul_lo_u16 v32, v52, 40
	ds_load_b64 v[46:47], v31
	v_add_nc_u32_e32 v54, 0x1680, v30
	v_sub_nc_u16 v41, v0, v32
	s_wait_loadcnt_dscnt 0x400
	v_mul_f32_e32 v59, v14, v47
	ds_load_2addr_b64 v[32:35], v54 offset1:240
	ds_load_2addr_b64 v[36:39], v10 offset1:240
	v_add_nc_u32_e32 v55, 0x3480, v30
	v_and_b32_e32 v57, 0xff, v41
	v_mul_f32_e32 v58, v12, v45
	v_or_b32_e32 v29, v56, v29
	v_mul_f32_e32 v12, v12, v44
	v_mul_f32_e32 v14, v14, v46
	v_fmac_f32_e32 v59, v13, v46
	s_delay_alu instid0(VALU_DEP_4)
	v_lshl_add_u32 v29, v29, 3, 0
	s_wait_loadcnt_dscnt 0x301
	v_mul_f32_e32 v60, v16, v33
	v_mul_f32_e32 v16, v16, v32
	ds_load_b64 v[48:49], v30
	ds_load_b64 v[50:51], v30 offset:17280
	ds_load_2addr_b64 v[40:43], v55 offset1:240
	v_mul_u32_u24_e32 v56, 9, v57
	v_mul_f32_e32 v61, v18, v35
	v_mul_f32_e32 v18, v18, v34
	s_wait_loadcnt_dscnt 0x203
	v_dual_mul_f32 v62, v20, v37 :: v_dual_mul_f32 v63, v39, v22
	v_lshlrev_b32_e32 v56, 3, v56
	v_dual_mul_f32 v20, v20, v36 :: v_dual_fmac_f32 v61, v17, v34
	global_wb scope:SCOPE_SE
	s_wait_loadcnt_dscnt 0x0
	v_fmac_f32_e32 v63, v38, v21
	s_barrier_signal -1
	s_barrier_wait -1
	global_inv scope:SCOPE_SE
	v_mul_f32_e32 v66, v51, v28
	v_mul_f32_e32 v64, v41, v24
	v_dual_mul_f32 v24, v40, v24 :: v_dual_mul_f32 v65, v43, v26
	v_mul_f32_e32 v26, v42, v26
	v_fmac_f32_e32 v58, v11, v44
	v_fma_f32 v44, v11, v45, -v12
	v_fma_f32 v11, v13, v47, -v14
	v_fmac_f32_e32 v65, v42, v25
	v_mul_f32_e32 v28, v50, v28
	v_fma_f32 v12, v15, v33, -v16
	v_fmac_f32_e32 v62, v19, v36
	v_fma_f32 v14, v19, v37, -v20
	v_fmac_f32_e32 v64, v40, v23
	v_fma_f32 v16, v41, v23, -v24
	v_add_f32_e32 v19, v48, v59
	v_fma_f32 v13, v17, v35, -v18
	v_sub_f32_e32 v23, v59, v61
	v_fma_f32 v17, v43, v25, -v26
	v_mul_f32_e32 v22, v38, v22
	v_fmac_f32_e32 v60, v15, v32
	v_add_f32_e32 v25, v59, v65
	v_fma_f32 v18, v51, v27, -v28
	v_dual_fmac_f32 v66, v50, v27 :: v_dual_sub_f32 v33, v59, v65
	v_fma_f32 v15, v39, v21, -v22
	v_dual_add_f32 v20, v61, v63 :: v_dual_sub_f32 v35, v11, v13
	v_sub_f32_e32 v21, v11, v17
	s_delay_alu instid0(VALU_DEP_3)
	v_dual_sub_f32 v27, v63, v65 :: v_dual_sub_f32 v22, v13, v15
	v_dual_add_f32 v37, v11, v17 :: v_dual_add_f32 v28, v49, v11
	v_sub_f32_e32 v45, v66, v64
	v_sub_f32_e32 v11, v13, v11
	v_dual_sub_f32 v24, v65, v63 :: v_dual_add_f32 v39, v58, v60
	v_dual_sub_f32 v41, v12, v18 :: v_dual_sub_f32 v26, v61, v59
	v_dual_sub_f32 v43, v60, v62 :: v_dual_add_f32 v32, v13, v15
	v_dual_sub_f32 v47, v62, v60 :: v_dual_sub_f32 v34, v61, v63
	v_dual_add_f32 v51, v44, v12 :: v_dual_sub_f32 v36, v17, v15
	v_add_f32_e32 v59, v14, v16
	v_dual_add_f32 v40, v62, v64 :: v_dual_sub_f32 v71, v16, v18
	v_dual_sub_f32 v42, v14, v16 :: v_dual_add_f32 v19, v19, v61
	v_dual_add_f32 v46, v60, v66 :: v_dual_sub_f32 v69, v18, v16
	v_sub_f32_e32 v50, v64, v66
	v_sub_f32_e32 v68, v12, v14
	s_delay_alu instid0(VALU_DEP_4)
	v_dual_add_f32 v70, v12, v18 :: v_dual_add_f32 v19, v19, v63
	v_dual_sub_f32 v12, v14, v12 :: v_dual_add_f32 v13, v28, v13
	v_fma_f32 v61, -0.5, v20, v48
	v_dual_add_f32 v20, v23, v24 :: v_dual_add_f32 v23, v26, v27
	v_add_f32_e32 v26, v39, v62
	v_dual_sub_f32 v38, v15, v17 :: v_dual_sub_f32 v67, v62, v64
	v_sub_f32_e32 v60, v60, v66
	v_fma_f32 v24, -0.5, v25, v48
	v_add_f32_e32 v25, v35, v36
	v_fma_f32 v48, -0.5, v32, v49
	v_fmac_f32_e32 v49, -0.5, v37
	v_fma_f32 v27, -0.5, v40, v58
	v_dual_add_f32 v28, v43, v45 :: v_dual_add_f32 v13, v13, v15
	v_add_f32_e32 v14, v51, v14
	v_fma_f32 v35, -0.5, v59, v44
	v_dual_fmac_f32 v44, -0.5, v70 :: v_dual_fmamk_f32 v37, v21, 0xbf737871, v61
	v_dual_fmac_f32 v61, 0x3f737871, v21 :: v_dual_fmac_f32 v58, -0.5, v46
	v_add_f32_e32 v15, v26, v64
	v_dual_add_f32 v11, v11, v38 :: v_dual_add_f32 v36, v68, v69
	v_dual_add_f32 v32, v47, v50 :: v_dual_fmamk_f32 v39, v33, 0x3f737871, v48
	v_add_f32_e32 v12, v12, v71
	v_dual_fmamk_f32 v38, v22, 0x3f737871, v24 :: v_dual_add_f32 v19, v19, v65
	v_dual_fmac_f32 v24, 0xbf737871, v22 :: v_dual_add_f32 v17, v13, v17
	v_dual_fmac_f32 v48, 0xbf737871, v33 :: v_dual_add_f32 v13, v15, v66
	v_fmamk_f32 v26, v41, 0xbf737871, v27
	v_fmac_f32_e32 v27, 0x3f737871, v41
	v_fmamk_f32 v43, v42, 0x3f737871, v58
	v_dual_add_f32 v14, v14, v16 :: v_dual_fmac_f32 v37, 0xbf167918, v22
	v_fmamk_f32 v16, v60, 0x3f737871, v35
	v_fmac_f32_e32 v35, 0xbf737871, v60
	v_dual_fmamk_f32 v40, v34, 0xbf737871, v49 :: v_dual_fmamk_f32 v45, v67, 0xbf737871, v44
	v_fmac_f32_e32 v49, 0x3f737871, v34
	v_fmac_f32_e32 v39, 0x3f167918, v34
	;; [unrolled: 1-line block ×3, first 2 shown]
	s_delay_alu instid0(VALU_DEP_4) | instskip(SKIP_3) | instid1(VALU_DEP_4)
	v_fmac_f32_e32 v40, 0x3f167918, v33
	v_dual_add_f32 v14, v14, v18 :: v_dual_fmac_f32 v45, 0x3f167918, v60
	v_fmac_f32_e32 v49, 0xbf167918, v33
	v_fmac_f32_e32 v43, 0xbf167918, v41
	v_dual_fmac_f32 v39, 0x3e9e377a, v25 :: v_dual_fmac_f32 v40, 0x3e9e377a, v11
	s_delay_alu instid0(VALU_DEP_3) | instskip(SKIP_4) | instid1(VALU_DEP_4)
	v_dual_fmac_f32 v48, 0x3e9e377a, v25 :: v_dual_fmac_f32 v49, 0x3e9e377a, v11
	v_fmac_f32_e32 v45, 0x3e9e377a, v12
	v_dual_add_f32 v11, v19, v13 :: v_dual_fmac_f32 v26, 0xbf167918, v42
	v_fmac_f32_e32 v43, 0x3e9e377a, v32
	v_dual_fmac_f32 v38, 0xbf167918, v21 :: v_dual_fmac_f32 v35, 0xbf167918, v67
	v_mul_f32_e32 v25, 0xbf737871, v45
	s_delay_alu instid0(VALU_DEP_4) | instskip(SKIP_1) | instid1(VALU_DEP_4)
	v_fmac_f32_e32 v26, 0x3e9e377a, v28
	v_dual_fmac_f32 v61, 0x3f167918, v22 :: v_dual_fmac_f32 v24, 0x3f167918, v21
	v_dual_fmac_f32 v37, 0x3e9e377a, v20 :: v_dual_fmac_f32 v38, 0x3e9e377a, v23
	s_delay_alu instid0(VALU_DEP_4) | instskip(SKIP_4) | instid1(VALU_DEP_4)
	v_fmac_f32_e32 v25, 0x3e9e377a, v43
	v_fmac_f32_e32 v16, 0x3f167918, v67
	v_fmac_f32_e32 v44, 0x3f737871, v67
	v_dual_fmac_f32 v61, 0x3e9e377a, v20 :: v_dual_fmac_f32 v24, 0x3e9e377a, v23
	v_dual_fmac_f32 v58, 0xbf737871, v42 :: v_dual_sub_f32 v13, v19, v13
	v_fmac_f32_e32 v16, 0x3e9e377a, v36
	s_delay_alu instid0(VALU_DEP_2) | instskip(NEXT) | instid1(VALU_DEP_2)
	v_dual_fmac_f32 v27, 0x3f167918, v42 :: v_dual_fmac_f32 v58, 0x3f167918, v41
	v_mul_f32_e32 v23, 0xbf167918, v16
	s_delay_alu instid0(VALU_DEP_2) | instskip(NEXT) | instid1(VALU_DEP_2)
	v_fmac_f32_e32 v27, 0x3e9e377a, v28
	v_fmac_f32_e32 v23, 0x3f4f1bbd, v26
	;; [unrolled: 1-line block ×3, first 2 shown]
	s_delay_alu instid0(VALU_DEP_2) | instskip(NEXT) | instid1(VALU_DEP_2)
	v_dual_fmac_f32 v58, 0x3e9e377a, v32 :: v_dual_add_f32 v15, v37, v23
	v_fmac_f32_e32 v44, 0x3e9e377a, v12
	v_add_f32_e32 v12, v17, v14
	v_dual_sub_f32 v14, v17, v14 :: v_dual_add_f32 v17, v38, v25
	v_sub_f32_e32 v25, v38, v25
	v_mul_f32_e32 v33, 0x3f4f1bbd, v16
	v_mul_f32_e32 v28, 0xbf737871, v44
	s_delay_alu instid0(VALU_DEP_2) | instskip(NEXT) | instid1(VALU_DEP_1)
	v_fmac_f32_e32 v33, 0x3f167918, v26
	v_dual_add_f32 v16, v39, v33 :: v_dual_fmac_f32 v35, 0x3e9e377a, v36
	v_mul_f32_e32 v34, 0x3e9e377a, v45
	s_delay_alu instid0(VALU_DEP_2) | instskip(SKIP_1) | instid1(VALU_DEP_2)
	v_mul_f32_e32 v32, 0xbf167918, v35
	v_mul_f32_e32 v35, 0xbf4f1bbd, v35
	v_fmac_f32_e32 v32, 0xbf4f1bbd, v27
	s_delay_alu instid0(VALU_DEP_2) | instskip(NEXT) | instid1(VALU_DEP_1)
	v_fmac_f32_e32 v35, 0x3f167918, v27
	v_dual_add_f32 v21, v61, v32 :: v_dual_add_f32 v22, v48, v35
	v_dual_sub_f32 v23, v37, v23 :: v_dual_fmac_f32 v28, 0xbe9e377a, v58
	s_delay_alu instid0(VALU_DEP_1)
	v_dual_fmac_f32 v34, 0x3f737871, v43 :: v_dual_sub_f32 v27, v24, v28
	v_add_f32_e32 v19, v24, v28
	v_sub_f32_e32 v32, v61, v32
	v_dual_sub_f32 v24, v39, v33 :: v_dual_sub_f32 v33, v48, v35
	v_mul_f32_e32 v36, 0xbe9e377a, v44
	v_add_f32_e32 v18, v40, v34
	v_sub_f32_e32 v26, v40, v34
	s_delay_alu instid0(VALU_DEP_3) | instskip(NEXT) | instid1(VALU_DEP_1)
	v_fmac_f32_e32 v36, 0x3f737871, v58
	v_add_f32_e32 v20, v49, v36
	v_sub_f32_e32 v28, v49, v36
	ds_store_2addr_b64 v29, v[11:12], v[15:16] offset1:4
	ds_store_2addr_b64 v29, v[17:18], v[19:20] offset0:8 offset1:12
	ds_store_2addr_b64 v29, v[21:22], v[13:14] offset0:16 offset1:20
	;; [unrolled: 1-line block ×4, first 2 shown]
	global_wb scope:SCOPE_SE
	s_wait_dscnt 0x0
	s_barrier_signal -1
	s_barrier_wait -1
	global_inv scope:SCOPE_SE
	s_clause 0x4
	global_load_b128 v[11:14], v56, s[4:5] offset:288
	global_load_b128 v[15:18], v56, s[4:5] offset:304
	;; [unrolled: 1-line block ×4, first 2 shown]
	global_load_b64 v[27:28], v56, s[4:5] offset:352
	ds_load_b64 v[44:45], v53
	ds_load_b64 v[46:47], v31
	ds_load_2addr_b64 v[32:35], v54 offset1:240
	ds_load_2addr_b64 v[40:43], v55 offset1:240
	v_and_b32_e32 v29, 0xffff, v52
	v_lshlrev_b32_e32 v36, 3, v57
	s_delay_alu instid0(VALU_DEP_2)
	v_mul_u32_u24_e32 v29, 0xc80, v29
	s_wait_loadcnt_dscnt 0x301
	v_mul_f32_e32 v55, v16, v33
	s_wait_loadcnt_dscnt 0x100
	v_mul_f32_e32 v59, v41, v24
	v_add3_u32 v52, 0, v29, v36
	ds_load_2addr_b64 v[36:39], v10 offset1:240
	ds_load_b64 v[48:49], v30
	ds_load_b64 v[50:51], v30 offset:17280
	v_dual_mul_f32 v10, v12, v45 :: v_dual_mul_f32 v29, v14, v47
	v_dual_mul_f32 v14, v14, v46 :: v_dual_fmac_f32 v55, v15, v32
	v_dual_fmac_f32 v59, v40, v23 :: v_dual_add_nc_u32 v54, 0x800, v52
	s_delay_alu instid0(VALU_DEP_3)
	v_fmac_f32_e32 v29, v13, v46
	v_add_nc_u32_e32 v53, 0x400, v52
	global_wb scope:SCOPE_SE
	s_wait_loadcnt_dscnt 0x0
	s_barrier_signal -1
	s_barrier_wait -1
	global_inv scope:SCOPE_SE
	v_mul_f32_e32 v57, v20, v37
	v_mul_f32_e32 v61, v51, v28
	;; [unrolled: 1-line block ×5, first 2 shown]
	v_fmac_f32_e32 v10, v11, v44
	v_dual_mul_f32 v16, v16, v32 :: v_dual_fmac_f32 v61, v50, v27
	v_fma_f32 v11, v11, v45, -v12
	v_fma_f32 v12, v13, v47, -v14
	;; [unrolled: 1-line block ×3, first 2 shown]
	v_mul_f32_e32 v58, v39, v22
	v_fma_f32 v13, v15, v33, -v16
	v_mul_f32_e32 v20, v20, v36
	v_dual_fmac_f32 v57, v19, v36 :: v_dual_fmac_f32 v56, v17, v34
	v_dual_add_f32 v45, v55, v61 :: v_dual_mul_f32 v22, v38, v22
	v_mul_f32_e32 v28, v50, v28
	s_delay_alu instid0(VALU_DEP_4)
	v_fma_f32 v15, v19, v37, -v20
	v_mul_f32_e32 v24, v40, v24
	v_add_f32_e32 v20, v48, v29
	v_add_f32_e32 v32, v49, v12
	v_fma_f32 v19, v51, v27, -v28
	v_sub_f32_e32 v27, v56, v29
	v_fma_f32 v16, v39, v21, -v22
	v_mul_f32_e32 v60, v43, v26
	v_sub_f32_e32 v35, v12, v14
	v_sub_f32_e32 v63, v13, v15
	v_add_f32_e32 v65, v13, v19
	v_add_f32_e32 v33, v14, v16
	v_fmac_f32_e32 v60, v42, v25
	v_mul_f32_e32 v26, v42, v26
	v_dual_add_f32 v40, v57, v59 :: v_dual_sub_f32 v47, v59, v61
	s_delay_alu instid0(VALU_DEP_2)
	v_fma_f32 v18, v43, v25, -v26
	v_sub_f32_e32 v43, v55, v57
	v_fma_f32 v17, v41, v23, -v24
	v_sub_f32_e32 v23, v14, v16
	v_fmac_f32_e32 v58, v38, v21
	v_dual_sub_f32 v24, v29, v56 :: v_dual_add_f32 v37, v12, v18
	s_delay_alu instid0(VALU_DEP_4) | instskip(SKIP_1) | instid1(VALU_DEP_4)
	v_add_f32_e32 v51, v15, v17
	v_sub_f32_e32 v41, v13, v19
	v_add_f32_e32 v21, v56, v58
	v_dual_sub_f32 v25, v60, v58 :: v_dual_sub_f32 v28, v58, v60
	v_sub_f32_e32 v36, v18, v16
	v_sub_f32_e32 v66, v17, v19
	v_add_f32_e32 v50, v11, v13
	v_dual_sub_f32 v13, v15, v13 :: v_dual_sub_f32 v22, v12, v18
	v_add_f32_e32 v26, v29, v60
	v_dual_sub_f32 v29, v29, v60 :: v_dual_sub_f32 v34, v56, v58
	v_sub_f32_e32 v12, v14, v12
	v_add_f32_e32 v39, v10, v55
	v_dual_add_f32 v13, v13, v66 :: v_dual_sub_f32 v42, v15, v17
	v_dual_add_f32 v15, v50, v15 :: v_dual_add_f32 v20, v20, v56
	v_fma_f32 v56, -0.5, v21, v48
	v_add_f32_e32 v21, v24, v25
	v_add_f32_e32 v25, v35, v36
	s_delay_alu instid0(VALU_DEP_4)
	v_add_f32_e32 v15, v15, v17
	v_fma_f32 v35, -0.5, v51, v11
	v_add_f32_e32 v14, v32, v14
	v_fma_f32 v32, -0.5, v33, v49
	v_sub_f32_e32 v44, v61, v59
	v_sub_f32_e32 v64, v19, v17
	v_dual_fmac_f32 v49, -0.5, v37 :: v_dual_sub_f32 v46, v57, v55
	v_sub_f32_e32 v55, v55, v61
	v_fma_f32 v48, -0.5, v26, v48
	v_dual_add_f32 v24, v27, v28 :: v_dual_fmac_f32 v11, -0.5, v65
	v_fma_f32 v27, -0.5, v40, v10
	v_sub_f32_e32 v62, v57, v59
	v_dual_add_f32 v26, v39, v57 :: v_dual_fmamk_f32 v39, v29, 0x3f737871, v32
	v_dual_fmamk_f32 v37, v22, 0xbf737871, v56 :: v_dual_add_f32 v28, v43, v44
	v_dual_fmamk_f32 v17, v55, 0x3f737871, v35 :: v_dual_add_f32 v14, v14, v16
	s_delay_alu instid0(VALU_DEP_3) | instskip(SKIP_1) | instid1(VALU_DEP_4)
	v_fmac_f32_e32 v39, 0x3f167918, v34
	v_fmac_f32_e32 v35, 0xbf737871, v55
	;; [unrolled: 1-line block ×3, first 2 shown]
	v_dual_fmac_f32 v56, 0x3f737871, v22 :: v_dual_add_f32 v15, v15, v19
	s_delay_alu instid0(VALU_DEP_4) | instskip(SKIP_4) | instid1(VALU_DEP_4)
	v_fmac_f32_e32 v39, 0x3e9e377a, v25
	v_fmamk_f32 v40, v34, 0xbf737871, v49
	v_fmac_f32_e32 v49, 0x3f737871, v34
	v_dual_sub_f32 v38, v16, v18 :: v_dual_add_f32 v33, v46, v47
	v_add_f32_e32 v36, v63, v64
	v_fmac_f32_e32 v40, 0x3f167918, v29
	v_add_f32_e32 v16, v26, v59
	s_delay_alu instid0(VALU_DEP_4) | instskip(NEXT) | instid1(VALU_DEP_1)
	v_dual_add_f32 v12, v12, v38 :: v_dual_fmac_f32 v49, 0xbf167918, v29
	v_dual_fmac_f32 v37, 0x3e9e377a, v21 :: v_dual_fmac_f32 v40, 0x3e9e377a, v12
	v_fmamk_f32 v26, v41, 0xbf737871, v27
	v_fmac_f32_e32 v27, 0x3f737871, v41
	v_dual_fmac_f32 v10, -0.5, v45 :: v_dual_fmac_f32 v17, 0x3f167918, v62
	v_dual_fmac_f32 v35, 0xbf167918, v62 :: v_dual_add_f32 v16, v16, v61
	v_fmac_f32_e32 v49, 0x3e9e377a, v12
	v_fmamk_f32 v44, v62, 0xbf737871, v11
	v_fmac_f32_e32 v11, 0x3f737871, v62
	v_fmac_f32_e32 v27, 0x3f167918, v42
	v_dual_fmamk_f32 v43, v42, 0x3f737871, v10 :: v_dual_add_f32 v20, v20, v58
	v_fmac_f32_e32 v17, 0x3e9e377a, v36
	s_delay_alu instid0(VALU_DEP_4) | instskip(NEXT) | instid1(VALU_DEP_3)
	v_dual_fmac_f32 v11, 0xbf167918, v55 :: v_dual_add_f32 v14, v14, v18
	v_dual_fmac_f32 v43, 0xbf167918, v41 :: v_dual_add_f32 v20, v20, v60
	v_fmac_f32_e32 v32, 0xbf737871, v29
	s_delay_alu instid0(VALU_DEP_3) | instskip(SKIP_1) | instid1(VALU_DEP_4)
	v_fmac_f32_e32 v11, 0x3e9e377a, v13
	v_mul_f32_e32 v12, 0xbf167918, v17
	v_dual_mul_f32 v17, 0x3f4f1bbd, v17 :: v_dual_add_f32 v18, v20, v16
	v_fmac_f32_e32 v56, 0x3f167918, v23
	v_sub_f32_e32 v20, v20, v16
	v_dual_fmamk_f32 v38, v23, 0x3f737871, v48 :: v_dual_add_f32 v19, v14, v15
	s_delay_alu instid0(VALU_DEP_3) | instskip(SKIP_2) | instid1(VALU_DEP_3)
	v_dual_fmac_f32 v35, 0x3e9e377a, v36 :: v_dual_fmac_f32 v56, 0x3e9e377a, v21
	v_fmac_f32_e32 v27, 0x3e9e377a, v28
	v_dual_sub_f32 v21, v14, v15 :: v_dual_fmac_f32 v32, 0xbf167918, v34
	v_dual_fmac_f32 v38, 0xbf167918, v22 :: v_dual_mul_f32 v15, 0xbf167918, v35
	v_mul_f32_e32 v35, 0xbf4f1bbd, v35
	v_mul_f32_e32 v34, 0xbe9e377a, v11
	s_delay_alu instid0(VALU_DEP_4) | instskip(NEXT) | instid1(VALU_DEP_4)
	v_fmac_f32_e32 v32, 0x3e9e377a, v25
	v_dual_fmac_f32 v38, 0x3e9e377a, v24 :: v_dual_fmac_f32 v43, 0x3e9e377a, v33
	s_delay_alu instid0(VALU_DEP_4) | instskip(SKIP_3) | instid1(VALU_DEP_3)
	v_fmac_f32_e32 v35, 0x3f167918, v27
	v_fmac_f32_e32 v10, 0xbf737871, v42
	;; [unrolled: 1-line block ×3, first 2 shown]
	v_mul_f32_e32 v14, 0xbf737871, v11
	v_dual_add_f32 v29, v32, v35 :: v_dual_fmac_f32 v10, 0x3f167918, v41
	s_delay_alu instid0(VALU_DEP_1) | instskip(NEXT) | instid1(VALU_DEP_1)
	v_fmac_f32_e32 v10, 0x3e9e377a, v33
	v_fmac_f32_e32 v34, 0x3f737871, v10
	s_delay_alu instid0(VALU_DEP_1) | instskip(NEXT) | instid1(VALU_DEP_1)
	v_dual_add_f32 v27, v49, v34 :: v_dual_fmac_f32 v44, 0x3f167918, v55
	v_fmac_f32_e32 v44, 0x3e9e377a, v13
	s_delay_alu instid0(VALU_DEP_1) | instskip(SKIP_2) | instid1(VALU_DEP_3)
	v_dual_fmac_f32 v48, 0xbf737871, v23 :: v_dual_mul_f32 v13, 0xbf737871, v44
	v_mul_f32_e32 v33, 0x3e9e377a, v44
	v_fmac_f32_e32 v14, 0xbe9e377a, v10
	v_fmac_f32_e32 v13, 0x3e9e377a, v43
	s_delay_alu instid0(VALU_DEP_3) | instskip(NEXT) | instid1(VALU_DEP_1)
	v_fmac_f32_e32 v33, 0x3f737871, v43
	v_dual_add_f32 v25, v40, v33 :: v_dual_fmac_f32 v26, 0xbf167918, v42
	s_delay_alu instid0(VALU_DEP_1) | instskip(NEXT) | instid1(VALU_DEP_1)
	v_fmac_f32_e32 v26, 0x3e9e377a, v28
	v_fmac_f32_e32 v17, 0x3f167918, v26
	;; [unrolled: 1-line block ×3, first 2 shown]
	s_delay_alu instid0(VALU_DEP_2) | instskip(NEXT) | instid1(VALU_DEP_2)
	v_dual_fmac_f32 v12, 0x3f4f1bbd, v26 :: v_dual_sub_f32 v11, v39, v17
	v_fmac_f32_e32 v48, 0x3e9e377a, v24
	s_delay_alu instid0(VALU_DEP_2) | instskip(SKIP_2) | instid1(VALU_DEP_4)
	v_dual_add_f32 v22, v37, v12 :: v_dual_add_f32 v23, v39, v17
	v_add_f32_e32 v24, v38, v13
	v_add_f32_e32 v28, v56, v15
	;; [unrolled: 1-line block ×3, first 2 shown]
	v_sub_f32_e32 v10, v37, v12
	v_sub_f32_e32 v12, v38, v13
	;; [unrolled: 1-line block ×4, first 2 shown]
	v_dual_sub_f32 v14, v56, v15 :: v_dual_sub_f32 v17, v49, v34
	v_sub_f32_e32 v15, v32, v35
	ds_store_2addr_b64 v52, v[18:19], v[22:23] offset1:40
	ds_store_2addr_b64 v52, v[24:25], v[26:27] offset0:80 offset1:120
	ds_store_2addr_b64 v52, v[28:29], v[20:21] offset0:160 offset1:200
	ds_store_2addr_b64 v53, v[10:11], v[12:13] offset0:112 offset1:152
	ds_store_2addr_b64 v54, v[16:17], v[14:15] offset0:64 offset1:104
	global_wb scope:SCOPE_SE
	s_wait_dscnt 0x0
	s_barrier_signal -1
	s_barrier_wait -1
	global_inv scope:SCOPE_SE
	ds_load_b64 v[18:19], v30
	ds_load_b64 v[28:29], v30 offset:3200
	ds_load_b64 v[26:27], v30 offset:6400
	;; [unrolled: 1-line block ×5, first 2 shown]
	v_mul_i32_i24_e32 v32, 0xffffffe8, v5
	s_delay_alu instid0(VALU_DEP_1)
	v_add_nc_u32_e32 v32, v1, v32
	s_and_saveexec_b32 s1, s0
	s_cbranch_execz .LBB0_17
; %bb.16:
	ds_load_b64 v[10:11], v32
	ds_load_b64 v[12:13], v30 offset:5120
	ds_load_b64 v[16:17], v30 offset:8320
	ds_load_b64 v[14:15], v30 offset:11520
	ds_load_b64 v[6:7], v30 offset:14720
	ds_load_b64 v[8:9], v30 offset:17920
.LBB0_17:
	s_wait_alu 0xfffe
	s_or_b32 exec_lo, exec_lo, s1
	v_mul_u32_u24_e32 v1, 5, v0
	s_delay_alu instid0(VALU_DEP_1)
	v_lshlrev_b32_e32 v1, 3, v1
	s_clause 0x2
	global_load_b128 v[33:36], v1, s[4:5] offset:3168
	global_load_b128 v[37:40], v1, s[4:5] offset:3184
	global_load_b64 v[41:42], v1, s[4:5] offset:3200
	global_wb scope:SCOPE_SE
	s_wait_loadcnt_dscnt 0x0
	s_barrier_signal -1
	s_barrier_wait -1
	global_inv scope:SCOPE_SE
	v_mul_f32_e32 v1, v34, v29
	v_dual_mul_f32 v34, v34, v28 :: v_dual_mul_f32 v43, v36, v27
	v_mul_f32_e32 v44, v38, v25
	v_mul_f32_e32 v36, v36, v26
	v_dual_mul_f32 v38, v38, v24 :: v_dual_mul_f32 v45, v40, v23
	v_dual_mul_f32 v40, v40, v22 :: v_dual_fmac_f32 v1, v33, v28
	v_dual_mul_f32 v46, v42, v21 :: v_dual_fmac_f32 v43, v35, v26
	s_delay_alu instid0(VALU_DEP_3)
	v_dual_mul_f32 v42, v42, v20 :: v_dual_fmac_f32 v45, v39, v22
	v_fma_f32 v28, v33, v29, -v34
	v_fma_f32 v26, v35, v27, -v36
	v_fmac_f32_e32 v44, v37, v24
	v_fma_f32 v24, v37, v25, -v38
	v_fma_f32 v22, v39, v23, -v40
	v_dual_fmac_f32 v46, v41, v20 :: v_dual_add_f32 v23, v43, v45
	v_fma_f32 v20, v41, v21, -v42
	v_add_f32_e32 v21, v18, v43
	s_delay_alu instid0(VALU_DEP_4) | instskip(SKIP_2) | instid1(VALU_DEP_4)
	v_dual_sub_f32 v25, v26, v22 :: v_dual_add_f32 v36, v28, v24
	v_add_f32_e32 v27, v19, v26
	v_dual_add_f32 v26, v26, v22 :: v_dual_sub_f32 v29, v43, v45
	v_dual_sub_f32 v35, v24, v20 :: v_dual_add_f32 v38, v21, v45
	v_add_f32_e32 v24, v24, v20
	v_dual_add_f32 v33, v1, v44 :: v_dual_add_f32 v34, v44, v46
	v_sub_f32_e32 v37, v44, v46
	v_fma_f32 v18, -0.5, v23, v18
	s_delay_alu instid0(VALU_DEP_4)
	v_dual_fmac_f32 v28, -0.5, v24 :: v_dual_fmac_f32 v19, -0.5, v26
	v_dual_add_f32 v23, v27, v22 :: v_dual_add_f32 v26, v36, v20
	v_add_f32_e32 v22, v33, v46
	v_fmac_f32_e32 v1, -0.5, v34
	v_fmamk_f32 v33, v25, 0xbf5db3d7, v18
	v_fmac_f32_e32 v18, 0x3f5db3d7, v25
	v_dual_fmamk_f32 v34, v29, 0x3f5db3d7, v19 :: v_dual_add_f32 v21, v23, v26
	v_fmac_f32_e32 v19, 0xbf5db3d7, v29
	v_dual_fmamk_f32 v25, v37, 0x3f5db3d7, v28 :: v_dual_add_f32 v20, v38, v22
	v_fmac_f32_e32 v28, 0xbf5db3d7, v37
	v_fmamk_f32 v24, v35, 0xbf5db3d7, v1
	s_delay_alu instid0(VALU_DEP_3) | instskip(SKIP_1) | instid1(VALU_DEP_2)
	v_dual_fmac_f32 v1, 0x3f5db3d7, v35 :: v_dual_mul_f32 v36, 0.5, v25
	v_dual_mul_f32 v29, 0xbf5db3d7, v25 :: v_dual_sub_f32 v22, v38, v22
	v_fmac_f32_e32 v36, 0x3f5db3d7, v24
	s_delay_alu instid0(VALU_DEP_2) | instskip(SKIP_1) | instid1(VALU_DEP_2)
	v_fmac_f32_e32 v29, 0.5, v24
	v_mul_f32_e32 v35, 0xbf5db3d7, v28
	v_dual_sub_f32 v23, v23, v26 :: v_dual_add_f32 v24, v33, v29
	s_delay_alu instid0(VALU_DEP_2) | instskip(NEXT) | instid1(VALU_DEP_1)
	v_fmac_f32_e32 v35, -0.5, v1
	v_dual_mul_f32 v37, -0.5, v28 :: v_dual_add_f32 v26, v18, v35
	s_delay_alu instid0(VALU_DEP_1) | instskip(SKIP_3) | instid1(VALU_DEP_4)
	v_fmac_f32_e32 v37, 0x3f5db3d7, v1
	v_add_f32_e32 v25, v34, v36
	v_sub_f32_e32 v18, v18, v35
	v_dual_sub_f32 v28, v33, v29 :: v_dual_sub_f32 v29, v34, v36
	v_add_f32_e32 v27, v19, v37
	v_sub_f32_e32 v19, v19, v37
	ds_store_b64 v30, v[20:21]
	ds_store_b64 v30, v[24:25] offset:3200
	ds_store_b64 v30, v[26:27] offset:6400
	;; [unrolled: 1-line block ×5, first 2 shown]
	s_and_saveexec_b32 s1, s0
	s_cbranch_execz .LBB0_19
; %bb.18:
	v_add_nc_u32_e32 v1, 0xffffff60, v0
	v_mov_b32_e32 v19, 0
	s_delay_alu instid0(VALU_DEP_2) | instskip(NEXT) | instid1(VALU_DEP_1)
	v_cndmask_b32_e64 v1, v1, v5, s0
	v_mul_i32_i24_e32 v18, 5, v1
	s_delay_alu instid0(VALU_DEP_1) | instskip(NEXT) | instid1(VALU_DEP_1)
	v_lshlrev_b64_e32 v[18:19], 3, v[18:19]
	v_add_co_u32 v26, s0, s4, v18
	s_wait_alu 0xf1ff
	s_delay_alu instid0(VALU_DEP_2)
	v_add_co_ci_u32_e64 v27, s0, s5, v19, s0
	s_clause 0x2
	global_load_b128 v[18:21], v[26:27], off offset:3168
	global_load_b128 v[22:25], v[26:27], off offset:3184
	global_load_b64 v[26:27], v[26:27], off offset:3200
	s_wait_loadcnt 0x1
	v_mul_f32_e32 v28, v6, v25
	s_wait_loadcnt 0x0
	v_dual_mul_f32 v34, v9, v27 :: v_dual_mul_f32 v25, v7, v25
	v_mul_f32_e32 v33, v15, v23
	v_mul_f32_e32 v27, v8, v27
	v_fma_f32 v7, v7, v24, -v28
	s_delay_alu instid0(VALU_DEP_4) | instskip(SKIP_4) | instid1(VALU_DEP_4)
	v_dual_fmac_f32 v34, v8, v26 :: v_dual_fmac_f32 v25, v6, v24
	v_mul_f32_e32 v23, v14, v23
	v_fmac_f32_e32 v33, v14, v22
	v_mul_f32_e32 v1, v16, v21
	v_fma_f32 v8, v9, v26, -v27
	v_fma_f32 v6, v15, v22, -v23
	s_delay_alu instid0(VALU_DEP_4) | instskip(SKIP_4) | instid1(VALU_DEP_4)
	v_add_f32_e32 v14, v33, v34
	v_mul_f32_e32 v21, v17, v21
	v_fma_f32 v1, v17, v20, -v1
	v_mul_f32_e32 v29, v13, v19
	v_mul_f32_e32 v19, v12, v19
	v_fmac_f32_e32 v21, v16, v20
	s_delay_alu instid0(VALU_DEP_3) | instskip(NEXT) | instid1(VALU_DEP_3)
	v_dual_add_f32 v16, v6, v8 :: v_dual_fmac_f32 v29, v12, v18
	v_fma_f32 v9, v13, v18, -v19
	v_add_f32_e32 v12, v1, v7
	v_add_f32_e32 v18, v11, v1
	;; [unrolled: 1-line block ×3, first 2 shown]
	v_sub_f32_e32 v1, v1, v7
	v_dual_sub_f32 v15, v6, v8 :: v_dual_add_f32 v6, v9, v6
	v_fma_f32 v12, -0.5, v12, v11
	v_fma_f32 v11, -0.5, v14, v29
	;; [unrolled: 1-line block ×3, first 2 shown]
	v_add_f32_e32 v9, v18, v7
	v_fma_f32 v18, -0.5, v19, v10
	v_add_f32_e32 v20, v10, v21
	v_add_f32_e32 v8, v6, v8
	s_delay_alu instid0(VALU_DEP_3) | instskip(SKIP_1) | instid1(VALU_DEP_3)
	v_fmamk_f32 v22, v1, 0x3f5db3d7, v18
	v_sub_f32_e32 v13, v21, v25
	v_sub_f32_e32 v7, v9, v8
	v_add_f32_e32 v9, v9, v8
	s_delay_alu instid0(VALU_DEP_3) | instskip(SKIP_2) | instid1(VALU_DEP_1)
	v_fmamk_f32 v19, v13, 0xbf5db3d7, v12
	v_fmac_f32_e32 v12, 0x3f5db3d7, v13
	v_add_f32_e32 v21, v29, v33
	v_add_f32_e32 v16, v21, v34
	;; [unrolled: 1-line block ×3, first 2 shown]
	v_fmamk_f32 v20, v15, 0x3f5db3d7, v11
	s_delay_alu instid0(VALU_DEP_2) | instskip(SKIP_1) | instid1(VALU_DEP_1)
	v_dual_fmac_f32 v11, 0xbf5db3d7, v15 :: v_dual_add_f32 v8, v10, v16
	v_dual_sub_f32 v17, v33, v34 :: v_dual_fmac_f32 v18, 0xbf5db3d7, v1
	v_dual_sub_f32 v6, v10, v16 :: v_dual_fmamk_f32 v21, v17, 0xbf5db3d7, v14
	v_fmac_f32_e32 v14, 0x3f5db3d7, v17
	s_delay_alu instid0(VALU_DEP_1) | instskip(SKIP_1) | instid1(VALU_DEP_2)
	v_mul_f32_e32 v17, 0.5, v14
	v_mul_f32_e32 v23, 0xbf5db3d7, v14
	v_fmac_f32_e32 v17, 0x3f5db3d7, v11
	s_delay_alu instid0(VALU_DEP_2) | instskip(NEXT) | instid1(VALU_DEP_2)
	v_fmac_f32_e32 v23, 0.5, v11
	v_sub_f32_e32 v13, v12, v17
	s_delay_alu instid0(VALU_DEP_2) | instskip(SKIP_2) | instid1(VALU_DEP_2)
	v_dual_add_f32 v17, v12, v17 :: v_dual_sub_f32 v12, v18, v23
	v_mul_f32_e32 v1, -0.5, v21
	v_dual_mul_f32 v21, 0xbf5db3d7, v21 :: v_dual_add_f32 v16, v18, v23
	v_fmac_f32_e32 v1, 0x3f5db3d7, v20
	s_delay_alu instid0(VALU_DEP_2) | instskip(NEXT) | instid1(VALU_DEP_1)
	v_fmac_f32_e32 v21, -0.5, v20
	v_add_f32_e32 v14, v22, v21
	s_delay_alu instid0(VALU_DEP_3)
	v_add_f32_e32 v15, v19, v1
	v_sub_f32_e32 v11, v19, v1
	v_sub_f32_e32 v10, v22, v21
	ds_store_b64 v30, v[8:9] offset:1920
	ds_store_b64 v30, v[16:17] offset:5120
	;; [unrolled: 1-line block ×6, first 2 shown]
.LBB0_19:
	s_wait_alu 0xfffe
	s_or_b32 exec_lo, exec_lo, s1
	global_wb scope:SCOPE_SE
	s_wait_dscnt 0x0
	s_barrier_signal -1
	s_barrier_wait -1
	global_inv scope:SCOPE_SE
	ds_load_b64 v[11:12], v30
	v_lshlrev_b32_e32 v1, 3, v0
	s_mov_b32 s1, exec_lo
                                        ; implicit-def: $vgpr7
                                        ; implicit-def: $vgpr14
                                        ; implicit-def: $vgpr15
                                        ; implicit-def: $vgpr9_vgpr10
	s_delay_alu instid0(VALU_DEP_1)
	v_sub_nc_u32_e32 v13, 0, v1
	v_cmpx_ne_u32_e32 0, v0
	s_wait_alu 0xfffe
	s_xor_b32 s1, exec_lo, s1
	s_cbranch_execz .LBB0_21
; %bb.20:
	ds_load_b64 v[8:9], v13 offset:19200
	s_wait_dscnt 0x0
	v_dual_mov_b32 v1, 0 :: v_dual_sub_f32 v10, v11, v8
	s_delay_alu instid0(VALU_DEP_1) | instskip(SKIP_1) | instid1(VALU_DEP_3)
	v_lshlrev_b64_e32 v[6:7], 3, v[0:1]
	v_dual_add_f32 v14, v9, v12 :: v_dual_sub_f32 v9, v12, v9
	v_mul_f32_e32 v10, 0.5, v10
	s_delay_alu instid0(VALU_DEP_3) | instskip(NEXT) | instid1(VALU_DEP_3)
	v_add_co_u32 v6, s0, s4, v6
	v_mul_f32_e32 v9, 0.5, v9
	s_wait_alu 0xf1ff
	v_add_co_ci_u32_e64 v7, s0, s5, v7, s0
	v_mul_f32_e32 v12, 0.5, v14
	global_load_b64 v[6:7], v[6:7], off offset:19168
	s_wait_loadcnt 0x0
	v_dual_add_f32 v8, v8, v11 :: v_dual_mul_f32 v11, v7, v10
	v_fma_f32 v15, v12, v7, v9
	v_fma_f32 v7, v12, v7, -v9
	s_delay_alu instid0(VALU_DEP_3) | instskip(SKIP_1) | instid1(VALU_DEP_4)
	v_fma_f32 v9, v8, 0.5, -v11
	v_fma_f32 v14, 0.5, v8, v11
	v_fma_f32 v15, -v6, v10, v15
	s_delay_alu instid0(VALU_DEP_4) | instskip(NEXT) | instid1(VALU_DEP_4)
	v_fma_f32 v8, -v6, v10, v7
	v_fma_f32 v7, -v6, v12, v9
	v_dual_mov_b32 v10, v1 :: v_dual_mov_b32 v9, v0
	v_fmac_f32_e32 v14, v6, v12
                                        ; implicit-def: $vgpr11_vgpr12
.LBB0_21:
	s_wait_alu 0xfffe
	s_and_not1_saveexec_b32 s0, s1
	s_cbranch_execz .LBB0_23
; %bb.22:
	s_wait_dscnt 0x0
	v_dual_mov_b32 v15, 0 :: v_dual_add_f32 v14, v11, v12
	v_dual_mov_b32 v9, 0 :: v_dual_mov_b32 v8, 0
	v_dual_sub_f32 v7, v11, v12 :: v_dual_mov_b32 v10, 0
	ds_load_b32 v1, v15 offset:9604
	s_wait_dscnt 0x0
	v_xor_b32_e32 v1, 0x80000000, v1
	ds_store_b32 v15, v1 offset:9604
.LBB0_23:
	s_wait_alu 0xfffe
	s_or_b32 exec_lo, exec_lo, s0
	v_mov_b32_e32 v6, 0
	s_wait_dscnt 0x0
	s_delay_alu instid0(VALU_DEP_1) | instskip(SKIP_1) | instid1(VALU_DEP_1)
	v_lshlrev_b64_e32 v[11:12], 3, v[5:6]
	v_mov_b32_e32 v5, v6
	v_lshlrev_b64_e32 v[4:5], 3, v[4:5]
	s_delay_alu instid0(VALU_DEP_3) | instskip(SKIP_1) | instid1(VALU_DEP_4)
	v_add_co_u32 v11, s0, s4, v11
	s_wait_alu 0xf1ff
	v_add_co_ci_u32_e64 v12, s0, s5, v12, s0
	s_delay_alu instid0(VALU_DEP_3)
	v_add_co_u32 v4, s0, s4, v4
	global_load_b64 v[11:12], v[11:12], off offset:19168
	s_wait_alu 0xf1ff
	v_add_co_ci_u32_e64 v5, s0, s5, v5, s0
	s_add_nc_u64 s[0:1], s[4:5], 0x4ae0
	global_load_b64 v[16:17], v[4:5], off offset:19168
	v_lshlrev_b64_e32 v[4:5], 3, v[9:10]
	s_wait_alu 0xfffe
	s_delay_alu instid0(VALU_DEP_1) | instskip(SKIP_1) | instid1(VALU_DEP_2)
	v_add_co_u32 v9, s0, s0, v4
	s_wait_alu 0xf1ff
	v_add_co_ci_u32_e64 v10, s0, s1, v5, s0
	s_clause 0x1
	global_load_b64 v[18:19], v[9:10], off offset:5760
	global_load_b64 v[9:10], v[9:10], off offset:7680
	ds_store_2addr_b32 v30, v14, v15 offset1:1
	ds_store_b64 v13, v[7:8] offset:19200
	ds_load_b64 v[6:7], v32
	ds_load_b64 v[14:15], v13 offset:17280
	s_wait_dscnt 0x0
	v_dual_add_f32 v8, v7, v15 :: v_dual_sub_f32 v1, v6, v14
	v_dual_sub_f32 v7, v7, v15 :: v_dual_add_f32 v6, v6, v14
	s_delay_alu instid0(VALU_DEP_2) | instskip(SKIP_1) | instid1(VALU_DEP_1)
	v_dual_mul_f32 v8, 0.5, v8 :: v_dual_mul_f32 v1, 0.5, v1
	s_wait_loadcnt 0x3
	v_dual_mul_f32 v7, 0.5, v7 :: v_dual_mul_f32 v14, v12, v1
	s_delay_alu instid0(VALU_DEP_1) | instskip(SKIP_1) | instid1(VALU_DEP_3)
	v_fma_f32 v15, v8, v12, v7
	v_fma_f32 v7, v8, v12, -v7
	v_fma_f32 v12, 0.5, v6, v14
	v_fma_f32 v6, v6, 0.5, -v14
	s_delay_alu instid0(VALU_DEP_4) | instskip(NEXT) | instid1(VALU_DEP_4)
	v_fma_f32 v14, -v11, v1, v15
	v_fma_f32 v1, -v11, v1, v7
	s_delay_alu instid0(VALU_DEP_4) | instskip(NEXT) | instid1(VALU_DEP_4)
	v_fmac_f32_e32 v12, v11, v8
	v_fma_f32 v6, -v11, v8, v6
	ds_store_b32 v32, v14 offset:4
	ds_store_b32 v13, v1 offset:17284
	ds_store_b32 v32, v12
	ds_store_b32 v13, v6 offset:17280
	ds_load_b64 v[6:7], v31
	ds_load_b64 v[11:12], v13 offset:15360
	s_wait_dscnt 0x0
	v_dual_sub_f32 v1, v6, v11 :: v_dual_add_f32 v8, v7, v12
	v_dual_sub_f32 v7, v7, v12 :: v_dual_add_f32 v6, v6, v11
	s_delay_alu instid0(VALU_DEP_2) | instskip(NEXT) | instid1(VALU_DEP_2)
	v_dual_mul_f32 v1, 0.5, v1 :: v_dual_mul_f32 v8, 0.5, v8
	v_mul_f32_e32 v7, 0.5, v7
	s_wait_loadcnt 0x2
	s_delay_alu instid0(VALU_DEP_2) | instskip(NEXT) | instid1(VALU_DEP_2)
	v_mul_f32_e32 v11, v17, v1
	v_fma_f32 v12, v8, v17, v7
	v_fma_f32 v7, v8, v17, -v7
	s_delay_alu instid0(VALU_DEP_3) | instskip(NEXT) | instid1(VALU_DEP_2)
	v_fma_f32 v14, 0.5, v6, v11
	v_fma_f32 v7, -v16, v1, v7
	s_delay_alu instid0(VALU_DEP_2) | instskip(SKIP_2) | instid1(VALU_DEP_2)
	v_fmac_f32_e32 v14, v16, v8
	v_fma_f32 v6, v6, 0.5, -v11
	v_fma_f32 v11, -v16, v1, v12
	v_fma_f32 v6, -v16, v8, v6
	ds_store_2addr_b32 v31, v14, v11 offset1:1
	ds_store_b64 v13, v[6:7] offset:15360
	ds_load_b64 v[6:7], v30 offset:5760
	ds_load_b64 v[11:12], v13 offset:13440
	s_wait_dscnt 0x0
	v_dual_sub_f32 v1, v6, v11 :: v_dual_add_f32 v8, v7, v12
	v_dual_sub_f32 v7, v7, v12 :: v_dual_add_f32 v6, v6, v11
	s_delay_alu instid0(VALU_DEP_2) | instskip(SKIP_1) | instid1(VALU_DEP_1)
	v_dual_mul_f32 v1, 0.5, v1 :: v_dual_mul_f32 v8, 0.5, v8
	s_wait_loadcnt 0x1
	v_mul_f32_e32 v11, v19, v1
	s_delay_alu instid0(VALU_DEP_1) | instskip(SKIP_2) | instid1(VALU_DEP_3)
	v_fma_f32 v14, 0.5, v6, v11
	v_mul_f32_e32 v7, 0.5, v7
	v_fma_f32 v6, v6, 0.5, -v11
	v_dual_fmac_f32 v14, v18, v8 :: v_dual_add_nc_u32 v11, 0x1400, v30
	s_delay_alu instid0(VALU_DEP_3) | instskip(SKIP_1) | instid1(VALU_DEP_4)
	v_fma_f32 v12, v8, v19, v7
	v_fma_f32 v7, v8, v19, -v7
	v_fma_f32 v6, -v18, v8, v6
	s_delay_alu instid0(VALU_DEP_3) | instskip(NEXT) | instid1(VALU_DEP_3)
	v_fma_f32 v12, -v18, v1, v12
	v_fma_f32 v7, -v18, v1, v7
	ds_store_2addr_b32 v11, v14, v12 offset0:160 offset1:161
	ds_store_b64 v13, v[6:7] offset:13440
	ds_load_b64 v[6:7], v30 offset:7680
	ds_load_b64 v[11:12], v13 offset:11520
	s_wait_dscnt 0x0
	v_add_f32_e32 v8, v7, v12
	v_sub_f32_e32 v7, v7, v12
	s_delay_alu instid0(VALU_DEP_2) | instskip(SKIP_1) | instid1(VALU_DEP_3)
	v_dual_mul_f32 v8, 0.5, v8 :: v_dual_sub_f32 v1, v6, v11
	v_add_f32_e32 v6, v6, v11
	v_mul_f32_e32 v7, 0.5, v7
	s_delay_alu instid0(VALU_DEP_3) | instskip(SKIP_1) | instid1(VALU_DEP_2)
	v_mul_f32_e32 v1, 0.5, v1
	s_wait_loadcnt 0x0
	v_fma_f32 v12, v8, v10, v7
	v_fma_f32 v7, v8, v10, -v7
	s_delay_alu instid0(VALU_DEP_3) | instskip(NEXT) | instid1(VALU_DEP_3)
	v_mul_f32_e32 v11, v10, v1
	v_fma_f32 v12, -v9, v1, v12
	s_delay_alu instid0(VALU_DEP_3) | instskip(NEXT) | instid1(VALU_DEP_3)
	v_fma_f32 v7, -v9, v1, v7
	v_fma_f32 v10, 0.5, v6, v11
	v_fma_f32 v6, v6, 0.5, -v11
	s_delay_alu instid0(VALU_DEP_2) | instskip(NEXT) | instid1(VALU_DEP_2)
	v_dual_fmac_f32 v10, v9, v8 :: v_dual_add_nc_u32 v11, 0x1c00, v30
	v_fma_f32 v6, -v9, v8, v6
	ds_store_2addr_b32 v11, v10, v12 offset0:128 offset1:129
	ds_store_b64 v13, v[6:7] offset:11520
	global_wb scope:SCOPE_SE
	s_wait_dscnt 0x0
	s_barrier_signal -1
	s_barrier_wait -1
	global_inv scope:SCOPE_SE
	s_and_saveexec_b32 s0, vcc_lo
	s_cbranch_execz .LBB0_26
; %bb.24:
	v_add_nc_u32_e32 v1, 0xf00, v30
	v_add_nc_u32_e32 v14, 0x1e00, v30
	;; [unrolled: 1-line block ×4, first 2 shown]
	ds_load_2addr_b64 v[6:9], v30 offset1:240
	ds_load_2addr_b64 v[10:13], v1 offset1:240
	;; [unrolled: 1-line block ×5, first 2 shown]
	v_add_co_u32 v1, vcc_lo, s8, v2
	s_wait_alu 0xfffd
	v_add_co_ci_u32_e32 v2, vcc_lo, s9, v3, vcc_lo
	s_delay_alu instid0(VALU_DEP_2) | instskip(SKIP_1) | instid1(VALU_DEP_2)
	v_add_co_u32 v3, vcc_lo, v1, v4
	s_wait_alu 0xfffd
	v_add_co_ci_u32_e32 v4, vcc_lo, v2, v5, vcc_lo
	v_cmp_eq_u32_e32 vcc_lo, 0xef, v0
	s_wait_dscnt 0x4
	s_clause 0x1
	global_store_b64 v[3:4], v[6:7], off
	global_store_b64 v[3:4], v[8:9], off offset:1920
	s_wait_dscnt 0x3
	s_clause 0x1
	global_store_b64 v[3:4], v[10:11], off offset:3840
	global_store_b64 v[3:4], v[12:13], off offset:5760
	s_wait_dscnt 0x2
	s_clause 0x1
	global_store_b64 v[3:4], v[14:15], off offset:7680
	;; [unrolled: 4-line block ×4, first 2 shown]
	global_store_b64 v[3:4], v[24:25], off offset:17280
	s_and_b32 exec_lo, exec_lo, vcc_lo
	s_cbranch_execz .LBB0_26
; %bb.25:
	v_mov_b32_e32 v0, 0
	ds_load_b64 v[3:4], v0 offset:19200
	s_wait_dscnt 0x0
	global_store_b64 v[1:2], v[3:4], off offset:19200
.LBB0_26:
	s_nop 0
	s_sendmsg sendmsg(MSG_DEALLOC_VGPRS)
	s_endpgm
	.section	.rodata,"a",@progbits
	.p2align	6, 0x0
	.amdhsa_kernel fft_rtc_back_len2400_factors_4_10_10_6_wgs_240_tpt_240_halfLds_sp_ip_CI_unitstride_sbrr_R2C_dirReg
		.amdhsa_group_segment_fixed_size 0
		.amdhsa_private_segment_fixed_size 0
		.amdhsa_kernarg_size 88
		.amdhsa_user_sgpr_count 2
		.amdhsa_user_sgpr_dispatch_ptr 0
		.amdhsa_user_sgpr_queue_ptr 0
		.amdhsa_user_sgpr_kernarg_segment_ptr 1
		.amdhsa_user_sgpr_dispatch_id 0
		.amdhsa_user_sgpr_private_segment_size 0
		.amdhsa_wavefront_size32 1
		.amdhsa_uses_dynamic_stack 0
		.amdhsa_enable_private_segment 0
		.amdhsa_system_sgpr_workgroup_id_x 1
		.amdhsa_system_sgpr_workgroup_id_y 0
		.amdhsa_system_sgpr_workgroup_id_z 0
		.amdhsa_system_sgpr_workgroup_info 0
		.amdhsa_system_vgpr_workitem_id 0
		.amdhsa_next_free_vgpr 72
		.amdhsa_next_free_sgpr 32
		.amdhsa_reserve_vcc 1
		.amdhsa_float_round_mode_32 0
		.amdhsa_float_round_mode_16_64 0
		.amdhsa_float_denorm_mode_32 3
		.amdhsa_float_denorm_mode_16_64 3
		.amdhsa_fp16_overflow 0
		.amdhsa_workgroup_processor_mode 1
		.amdhsa_memory_ordered 1
		.amdhsa_forward_progress 0
		.amdhsa_round_robin_scheduling 0
		.amdhsa_exception_fp_ieee_invalid_op 0
		.amdhsa_exception_fp_denorm_src 0
		.amdhsa_exception_fp_ieee_div_zero 0
		.amdhsa_exception_fp_ieee_overflow 0
		.amdhsa_exception_fp_ieee_underflow 0
		.amdhsa_exception_fp_ieee_inexact 0
		.amdhsa_exception_int_div_zero 0
	.end_amdhsa_kernel
	.text
.Lfunc_end0:
	.size	fft_rtc_back_len2400_factors_4_10_10_6_wgs_240_tpt_240_halfLds_sp_ip_CI_unitstride_sbrr_R2C_dirReg, .Lfunc_end0-fft_rtc_back_len2400_factors_4_10_10_6_wgs_240_tpt_240_halfLds_sp_ip_CI_unitstride_sbrr_R2C_dirReg
                                        ; -- End function
	.section	.AMDGPU.csdata,"",@progbits
; Kernel info:
; codeLenInByte = 7808
; NumSgprs: 34
; NumVgprs: 72
; ScratchSize: 0
; MemoryBound: 0
; FloatMode: 240
; IeeeMode: 1
; LDSByteSize: 0 bytes/workgroup (compile time only)
; SGPRBlocks: 4
; VGPRBlocks: 8
; NumSGPRsForWavesPerEU: 34
; NumVGPRsForWavesPerEU: 72
; Occupancy: 16
; WaveLimiterHint : 1
; COMPUTE_PGM_RSRC2:SCRATCH_EN: 0
; COMPUTE_PGM_RSRC2:USER_SGPR: 2
; COMPUTE_PGM_RSRC2:TRAP_HANDLER: 0
; COMPUTE_PGM_RSRC2:TGID_X_EN: 1
; COMPUTE_PGM_RSRC2:TGID_Y_EN: 0
; COMPUTE_PGM_RSRC2:TGID_Z_EN: 0
; COMPUTE_PGM_RSRC2:TIDIG_COMP_CNT: 0
	.text
	.p2alignl 7, 3214868480
	.fill 96, 4, 3214868480
	.type	__hip_cuid_1579cb937fd3bc74,@object ; @__hip_cuid_1579cb937fd3bc74
	.section	.bss,"aw",@nobits
	.globl	__hip_cuid_1579cb937fd3bc74
__hip_cuid_1579cb937fd3bc74:
	.byte	0                               ; 0x0
	.size	__hip_cuid_1579cb937fd3bc74, 1

	.ident	"AMD clang version 19.0.0git (https://github.com/RadeonOpenCompute/llvm-project roc-6.4.0 25133 c7fe45cf4b819c5991fe208aaa96edf142730f1d)"
	.section	".note.GNU-stack","",@progbits
	.addrsig
	.addrsig_sym __hip_cuid_1579cb937fd3bc74
	.amdgpu_metadata
---
amdhsa.kernels:
  - .args:
      - .actual_access:  read_only
        .address_space:  global
        .offset:         0
        .size:           8
        .value_kind:     global_buffer
      - .offset:         8
        .size:           8
        .value_kind:     by_value
      - .actual_access:  read_only
        .address_space:  global
        .offset:         16
        .size:           8
        .value_kind:     global_buffer
      - .actual_access:  read_only
        .address_space:  global
        .offset:         24
        .size:           8
        .value_kind:     global_buffer
      - .offset:         32
        .size:           8
        .value_kind:     by_value
      - .actual_access:  read_only
        .address_space:  global
        .offset:         40
        .size:           8
        .value_kind:     global_buffer
      - .actual_access:  read_only
        .address_space:  global
        .offset:         48
        .size:           8
        .value_kind:     global_buffer
      - .offset:         56
        .size:           4
        .value_kind:     by_value
      - .actual_access:  read_only
        .address_space:  global
        .offset:         64
        .size:           8
        .value_kind:     global_buffer
      - .actual_access:  read_only
        .address_space:  global
        .offset:         72
        .size:           8
        .value_kind:     global_buffer
      - .address_space:  global
        .offset:         80
        .size:           8
        .value_kind:     global_buffer
    .group_segment_fixed_size: 0
    .kernarg_segment_align: 8
    .kernarg_segment_size: 88
    .language:       OpenCL C
    .language_version:
      - 2
      - 0
    .max_flat_workgroup_size: 240
    .name:           fft_rtc_back_len2400_factors_4_10_10_6_wgs_240_tpt_240_halfLds_sp_ip_CI_unitstride_sbrr_R2C_dirReg
    .private_segment_fixed_size: 0
    .sgpr_count:     34
    .sgpr_spill_count: 0
    .symbol:         fft_rtc_back_len2400_factors_4_10_10_6_wgs_240_tpt_240_halfLds_sp_ip_CI_unitstride_sbrr_R2C_dirReg.kd
    .uniform_work_group_size: 1
    .uses_dynamic_stack: false
    .vgpr_count:     72
    .vgpr_spill_count: 0
    .wavefront_size: 32
    .workgroup_processor_mode: 1
amdhsa.target:   amdgcn-amd-amdhsa--gfx1201
amdhsa.version:
  - 1
  - 2
...

	.end_amdgpu_metadata
